;; amdgpu-corpus repo=ROCm/rocFFT kind=compiled arch=gfx906 opt=O3
	.text
	.amdgcn_target "amdgcn-amd-amdhsa--gfx906"
	.amdhsa_code_object_version 6
	.protected	fft_rtc_back_len52_factors_13_4_wgs_64_tpt_4_halfLds_half_op_CI_CI_unitstride_sbrr_C2R_dirReg ; -- Begin function fft_rtc_back_len52_factors_13_4_wgs_64_tpt_4_halfLds_half_op_CI_CI_unitstride_sbrr_C2R_dirReg
	.globl	fft_rtc_back_len52_factors_13_4_wgs_64_tpt_4_halfLds_half_op_CI_CI_unitstride_sbrr_C2R_dirReg
	.p2align	8
	.type	fft_rtc_back_len52_factors_13_4_wgs_64_tpt_4_halfLds_half_op_CI_CI_unitstride_sbrr_C2R_dirReg,@function
fft_rtc_back_len52_factors_13_4_wgs_64_tpt_4_halfLds_half_op_CI_CI_unitstride_sbrr_C2R_dirReg: ; @fft_rtc_back_len52_factors_13_4_wgs_64_tpt_4_halfLds_half_op_CI_CI_unitstride_sbrr_C2R_dirReg
; %bb.0:
	s_load_dwordx4 s[8:11], s[4:5], 0x58
	s_load_dwordx4 s[12:15], s[4:5], 0x0
	;; [unrolled: 1-line block ×3, first 2 shown]
	v_lshrrev_b32_e32 v11, 2, v0
	v_mov_b32_e32 v3, 0
	v_mov_b32_e32 v7, 0
	s_waitcnt lgkmcnt(0)
	v_cmp_lt_u64_e64 s[0:1], s[14:15], 2
	v_lshl_or_b32 v9, s6, 4, v11
	v_mov_b32_e32 v10, v3
	s_and_b64 vcc, exec, s[0:1]
	v_mov_b32_e32 v8, 0
	s_cbranch_vccnz .LBB0_8
; %bb.1:
	s_load_dwordx2 s[0:1], s[4:5], 0x10
	s_add_u32 s2, s18, 8
	s_addc_u32 s3, s19, 0
	s_add_u32 s6, s16, 8
	s_addc_u32 s7, s17, 0
	v_mov_b32_e32 v7, 0
	s_waitcnt lgkmcnt(0)
	s_add_u32 s20, s0, 8
	v_mov_b32_e32 v8, 0
	v_mov_b32_e32 v1, v7
	s_addc_u32 s21, s1, 0
	s_mov_b64 s[22:23], 1
	v_mov_b32_e32 v2, v8
.LBB0_2:                                ; =>This Inner Loop Header: Depth=1
	s_load_dwordx2 s[24:25], s[20:21], 0x0
                                        ; implicit-def: $vgpr5_vgpr6
	s_waitcnt lgkmcnt(0)
	v_or_b32_e32 v4, s25, v10
	v_cmp_ne_u64_e32 vcc, 0, v[3:4]
	s_and_saveexec_b64 s[0:1], vcc
	s_xor_b64 s[26:27], exec, s[0:1]
	s_cbranch_execz .LBB0_4
; %bb.3:                                ;   in Loop: Header=BB0_2 Depth=1
	v_cvt_f32_u32_e32 v4, s24
	v_cvt_f32_u32_e32 v5, s25
	s_sub_u32 s0, 0, s24
	s_subb_u32 s1, 0, s25
	v_mac_f32_e32 v4, 0x4f800000, v5
	v_rcp_f32_e32 v4, v4
	v_mul_f32_e32 v4, 0x5f7ffffc, v4
	v_mul_f32_e32 v5, 0x2f800000, v4
	v_trunc_f32_e32 v5, v5
	v_mac_f32_e32 v4, 0xcf800000, v5
	v_cvt_u32_f32_e32 v5, v5
	v_cvt_u32_f32_e32 v4, v4
	v_mul_lo_u32 v6, s0, v5
	v_mul_hi_u32 v12, s0, v4
	v_mul_lo_u32 v14, s1, v4
	v_mul_lo_u32 v13, s0, v4
	v_add_u32_e32 v6, v12, v6
	v_add_u32_e32 v6, v6, v14
	v_mul_hi_u32 v12, v4, v13
	v_mul_lo_u32 v14, v4, v6
	v_mul_hi_u32 v16, v4, v6
	v_mul_hi_u32 v15, v5, v13
	v_mul_lo_u32 v13, v5, v13
	v_mul_hi_u32 v17, v5, v6
	v_add_co_u32_e32 v12, vcc, v12, v14
	v_addc_co_u32_e32 v14, vcc, 0, v16, vcc
	v_mul_lo_u32 v6, v5, v6
	v_add_co_u32_e32 v12, vcc, v12, v13
	v_addc_co_u32_e32 v12, vcc, v14, v15, vcc
	v_addc_co_u32_e32 v13, vcc, 0, v17, vcc
	v_add_co_u32_e32 v6, vcc, v12, v6
	v_addc_co_u32_e32 v12, vcc, 0, v13, vcc
	v_add_co_u32_e32 v4, vcc, v4, v6
	v_addc_co_u32_e32 v5, vcc, v5, v12, vcc
	v_mul_lo_u32 v6, s0, v5
	v_mul_hi_u32 v12, s0, v4
	v_mul_lo_u32 v13, s1, v4
	v_mul_lo_u32 v14, s0, v4
	v_add_u32_e32 v6, v12, v6
	v_add_u32_e32 v6, v6, v13
	v_mul_lo_u32 v15, v4, v6
	v_mul_hi_u32 v16, v4, v14
	v_mul_hi_u32 v17, v4, v6
	v_mul_hi_u32 v13, v5, v14
	v_mul_lo_u32 v14, v5, v14
	v_mul_hi_u32 v12, v5, v6
	v_add_co_u32_e32 v15, vcc, v16, v15
	v_addc_co_u32_e32 v16, vcc, 0, v17, vcc
	v_mul_lo_u32 v6, v5, v6
	v_add_co_u32_e32 v14, vcc, v15, v14
	v_addc_co_u32_e32 v13, vcc, v16, v13, vcc
	v_addc_co_u32_e32 v12, vcc, 0, v12, vcc
	v_add_co_u32_e32 v6, vcc, v13, v6
	v_addc_co_u32_e32 v12, vcc, 0, v12, vcc
	v_add_co_u32_e32 v6, vcc, v4, v6
	v_addc_co_u32_e32 v12, vcc, v5, v12, vcc
	v_mad_u64_u32 v[4:5], s[0:1], v9, v12, 0
	v_mul_hi_u32 v13, v9, v6
	v_add_co_u32_e32 v14, vcc, v13, v4
	v_addc_co_u32_e32 v15, vcc, 0, v5, vcc
	v_mad_u64_u32 v[4:5], s[0:1], v10, v6, 0
	v_mad_u64_u32 v[12:13], s[0:1], v10, v12, 0
	v_add_co_u32_e32 v4, vcc, v14, v4
	v_addc_co_u32_e32 v4, vcc, v15, v5, vcc
	v_addc_co_u32_e32 v5, vcc, 0, v13, vcc
	v_add_co_u32_e32 v12, vcc, v4, v12
	v_addc_co_u32_e32 v6, vcc, 0, v5, vcc
	v_mul_lo_u32 v13, s25, v12
	v_mul_lo_u32 v14, s24, v6
	v_mad_u64_u32 v[4:5], s[0:1], s24, v12, 0
	v_add3_u32 v5, v5, v14, v13
	v_sub_u32_e32 v13, v10, v5
	v_mov_b32_e32 v14, s25
	v_sub_co_u32_e32 v4, vcc, v9, v4
	v_subb_co_u32_e64 v13, s[0:1], v13, v14, vcc
	v_subrev_co_u32_e64 v14, s[0:1], s24, v4
	v_subbrev_co_u32_e64 v13, s[0:1], 0, v13, s[0:1]
	v_cmp_le_u32_e64 s[0:1], s25, v13
	v_cndmask_b32_e64 v15, 0, -1, s[0:1]
	v_cmp_le_u32_e64 s[0:1], s24, v14
	v_cndmask_b32_e64 v14, 0, -1, s[0:1]
	v_cmp_eq_u32_e64 s[0:1], s25, v13
	v_cndmask_b32_e64 v13, v15, v14, s[0:1]
	v_add_co_u32_e64 v14, s[0:1], 2, v12
	v_addc_co_u32_e64 v15, s[0:1], 0, v6, s[0:1]
	v_add_co_u32_e64 v16, s[0:1], 1, v12
	v_addc_co_u32_e64 v17, s[0:1], 0, v6, s[0:1]
	v_subb_co_u32_e32 v5, vcc, v10, v5, vcc
	v_cmp_ne_u32_e64 s[0:1], 0, v13
	v_cmp_le_u32_e32 vcc, s25, v5
	v_cndmask_b32_e64 v13, v17, v15, s[0:1]
	v_cndmask_b32_e64 v15, 0, -1, vcc
	v_cmp_le_u32_e32 vcc, s24, v4
	v_cndmask_b32_e64 v4, 0, -1, vcc
	v_cmp_eq_u32_e32 vcc, s25, v5
	v_cndmask_b32_e32 v4, v15, v4, vcc
	v_cmp_ne_u32_e32 vcc, 0, v4
	v_cndmask_b32_e64 v4, v16, v14, s[0:1]
	v_cndmask_b32_e32 v6, v6, v13, vcc
	v_cndmask_b32_e32 v5, v12, v4, vcc
.LBB0_4:                                ;   in Loop: Header=BB0_2 Depth=1
	s_andn2_saveexec_b64 s[0:1], s[26:27]
	s_cbranch_execz .LBB0_6
; %bb.5:                                ;   in Loop: Header=BB0_2 Depth=1
	v_cvt_f32_u32_e32 v4, s24
	s_sub_i32 s26, 0, s24
	v_rcp_iflag_f32_e32 v4, v4
	v_mul_f32_e32 v4, 0x4f7ffffe, v4
	v_cvt_u32_f32_e32 v4, v4
	v_mul_lo_u32 v5, s26, v4
	v_mul_hi_u32 v5, v4, v5
	v_add_u32_e32 v4, v4, v5
	v_mul_hi_u32 v4, v9, v4
	v_mul_lo_u32 v5, v4, s24
	v_add_u32_e32 v6, 1, v4
	v_sub_u32_e32 v5, v9, v5
	v_subrev_u32_e32 v12, s24, v5
	v_cmp_le_u32_e32 vcc, s24, v5
	v_cndmask_b32_e32 v5, v5, v12, vcc
	v_cndmask_b32_e32 v4, v4, v6, vcc
	v_add_u32_e32 v6, 1, v4
	v_cmp_le_u32_e32 vcc, s24, v5
	v_cndmask_b32_e32 v5, v4, v6, vcc
	v_mov_b32_e32 v6, v3
.LBB0_6:                                ;   in Loop: Header=BB0_2 Depth=1
	s_or_b64 exec, exec, s[0:1]
	v_mul_lo_u32 v4, v6, s24
	v_mul_lo_u32 v14, v5, s25
	v_mad_u64_u32 v[12:13], s[0:1], v5, s24, 0
	s_load_dwordx2 s[0:1], s[6:7], 0x0
	s_load_dwordx2 s[24:25], s[2:3], 0x0
	v_add3_u32 v4, v13, v14, v4
	v_sub_co_u32_e32 v9, vcc, v9, v12
	v_subb_co_u32_e32 v4, vcc, v10, v4, vcc
	s_waitcnt lgkmcnt(0)
	v_mul_lo_u32 v10, s0, v4
	v_mul_lo_u32 v12, s1, v9
	v_mad_u64_u32 v[7:8], s[0:1], s0, v9, v[7:8]
	s_add_u32 s22, s22, 1
	s_addc_u32 s23, s23, 0
	s_add_u32 s2, s2, 8
	v_mul_lo_u32 v4, s24, v4
	v_mul_lo_u32 v13, s25, v9
	v_mad_u64_u32 v[1:2], s[0:1], s24, v9, v[1:2]
	v_add3_u32 v8, v12, v8, v10
	s_addc_u32 s3, s3, 0
	v_mov_b32_e32 v9, s14
	s_add_u32 s6, s6, 8
	v_mov_b32_e32 v10, s15
	s_addc_u32 s7, s7, 0
	v_cmp_ge_u64_e32 vcc, s[22:23], v[9:10]
	s_add_u32 s20, s20, 8
	v_add3_u32 v2, v13, v2, v4
	s_addc_u32 s21, s21, 0
	s_cbranch_vccnz .LBB0_9
; %bb.7:                                ;   in Loop: Header=BB0_2 Depth=1
	v_mov_b32_e32 v10, v6
	v_mov_b32_e32 v9, v5
	s_branch .LBB0_2
.LBB0_8:
	v_mov_b32_e32 v1, v7
	v_mov_b32_e32 v5, v9
	;; [unrolled: 1-line block ×4, first 2 shown]
.LBB0_9:
	s_load_dwordx2 s[0:1], s[4:5], 0x28
	s_lshl_b64 s[6:7], s[14:15], 3
	s_add_u32 s4, s18, s6
	s_addc_u32 s5, s19, s7
	v_and_b32_e32 v3, 3, v0
	s_waitcnt lgkmcnt(0)
	v_cmp_gt_u64_e32 vcc, s[0:1], v[5:6]
	v_cmp_le_u64_e64 s[0:1], s[0:1], v[5:6]
	s_and_saveexec_b64 s[2:3], s[0:1]
	s_xor_b64 s[0:1], exec, s[2:3]
; %bb.10:
	v_and_b32_e32 v3, 3, v0
                                        ; implicit-def: $vgpr7_vgpr8
; %bb.11:
	s_or_saveexec_b64 s[2:3], s[0:1]
	s_load_dwordx2 s[4:5], s[4:5], 0x0
	v_mul_u32_u24_e32 v9, 53, v11
	s_xor_b64 exec, exec, s[2:3]
	s_cbranch_execz .LBB0_15
; %bb.12:
	s_add_u32 s0, s16, s6
	s_addc_u32 s1, s17, s7
	s_load_dwordx2 s[0:1], s[0:1], 0x0
	v_mov_b32_e32 v12, s9
	v_lshlrev_b64 v[7:8], 2, v[7:8]
	s_waitcnt lgkmcnt(0)
	v_mul_lo_u32 v0, s1, v5
	v_mul_lo_u32 v4, s0, v6
	v_mad_u64_u32 v[10:11], s[0:1], s0, v5, 0
	v_add3_u32 v11, v11, v4, v0
	v_lshlrev_b64 v[10:11], 2, v[10:11]
	v_add_co_u32_e64 v0, s[0:1], s8, v10
	v_addc_co_u32_e64 v4, s[0:1], v12, v11, s[0:1]
	v_add_co_u32_e64 v7, s[0:1], v0, v7
	v_addc_co_u32_e64 v8, s[0:1], v4, v8, s[0:1]
	v_lshlrev_b32_e32 v0, 2, v3
	v_add_co_u32_e64 v10, s[0:1], v7, v0
	v_addc_co_u32_e64 v11, s[0:1], 0, v8, s[0:1]
	global_load_dword v4, v[10:11], off
	global_load_dword v12, v[10:11], off offset:16
	global_load_dword v13, v[10:11], off offset:32
	;; [unrolled: 1-line block ×12, first 2 shown]
	v_lshlrev_b32_e32 v10, 2, v9
	v_add3_u32 v0, 0, v10, v0
	v_cmp_eq_u32_e64 s[0:1], 3, v3
	s_waitcnt vmcnt(11)
	ds_write2_b32 v0, v4, v12 offset1:4
	s_waitcnt vmcnt(9)
	ds_write2_b32 v0, v13, v14 offset0:8 offset1:12
	s_waitcnt vmcnt(7)
	ds_write2_b32 v0, v15, v16 offset0:16 offset1:20
	;; [unrolled: 2-line block ×5, first 2 shown]
	s_waitcnt vmcnt(0)
	ds_write_b32 v0, v23 offset:192
	s_and_saveexec_b64 s[6:7], s[0:1]
	s_cbranch_execz .LBB0_14
; %bb.13:
	global_load_dword v3, v[7:8], off offset:208
	s_waitcnt vmcnt(0)
	ds_write_b32 v0, v3 offset:196
	v_mov_b32_e32 v3, 3
.LBB0_14:
	s_or_b64 exec, exec, s[6:7]
.LBB0_15:
	s_or_b64 exec, exec, s[2:3]
	v_lshl_add_u32 v0, v9, 2, 0
	v_lshlrev_b32_e32 v4, 2, v3
	v_add_u32_e32 v21, v0, v4
	s_waitcnt lgkmcnt(0)
	; wave barrier
	s_waitcnt lgkmcnt(0)
	v_sub_u32_e32 v10, v0, v4
	ds_read_u16 v13, v21
	ds_read_u16 v14, v10 offset:208
	v_cmp_eq_u32_e64 s[0:1], 0, v3
	v_cmp_ne_u32_e64 s[2:3], 0, v3
                                        ; implicit-def: $vgpr7_vgpr8
	s_waitcnt lgkmcnt(0)
	v_add_f16_e32 v11, v14, v13
	v_sub_f16_e32 v12, v13, v14
	s_and_saveexec_b64 s[6:7], s[2:3]
	s_xor_b64 s[6:7], exec, s[6:7]
	s_cbranch_execz .LBB0_17
; %bb.16:
	v_mov_b32_e32 v4, 0
	v_lshlrev_b64 v[7:8], 2, v[3:4]
	v_mov_b32_e32 v11, s13
	v_add_co_u32_e64 v7, s[2:3], s12, v7
	v_addc_co_u32_e64 v8, s[2:3], v11, v8, s[2:3]
	global_load_dword v7, v[7:8], off offset:156
	ds_read_u16 v8, v10 offset:210
	ds_read_u16 v11, v21 offset:2
	v_add_f16_e32 v12, v14, v13
	v_sub_f16_e32 v13, v13, v14
	s_waitcnt lgkmcnt(0)
	v_add_f16_e32 v14, v8, v11
	v_sub_f16_e32 v8, v11, v8
	s_waitcnt vmcnt(0)
	v_lshrrev_b32_e32 v11, 16, v7
	v_fma_f16 v15, v13, v11, v12
	v_fma_f16 v16, v14, v11, v8
	v_fma_f16 v17, -v13, v11, v12
	v_fma_f16 v8, v14, v11, -v8
	v_fma_f16 v11, -v7, v14, v15
	v_fma_f16 v12, v13, v7, v16
	v_fma_f16 v14, v7, v14, v17
	;; [unrolled: 1-line block ×3, first 2 shown]
	v_pack_b32_f16 v7, v14, v7
	ds_write_b32 v10, v7 offset:208
	v_mov_b32_e32 v8, v4
	v_mov_b32_e32 v7, v3
.LBB0_17:
	s_andn2_saveexec_b64 s[2:3], s[6:7]
	s_cbranch_execz .LBB0_19
; %bb.18:
	ds_read_b32 v4, v0 offset:104
	s_mov_b32 s6, 0xc0004000
	v_mov_b32_e32 v7, 0
	v_mov_b32_e32 v8, 0
	s_waitcnt lgkmcnt(0)
	v_pk_mul_f16 v4, v4, s6
	ds_write_b32 v0, v4 offset:104
.LBB0_19:
	s_or_b64 exec, exec, s[2:3]
	s_add_u32 s2, s12, 0x9c
	v_lshlrev_b64 v[7:8], 2, v[7:8]
	s_addc_u32 s3, s13, 0
	v_mov_b32_e32 v4, s3
	v_add_co_u32_e64 v7, s[2:3], s2, v7
	v_addc_co_u32_e64 v8, s[2:3], v4, v8, s[2:3]
	global_load_dword v4, v[7:8], off offset:16
	global_load_dword v13, v[7:8], off offset:32
	;; [unrolled: 1-line block ×4, first 2 shown]
	s_mov_b32 s2, 0x5040100
	v_perm_b32 v11, v12, v11, s2
	ds_write_b32 v21, v11
	ds_read_b32 v11, v21 offset:16
	ds_read_b32 v12, v10 offset:192
	global_load_dword v16, v[7:8], off offset:80
	s_waitcnt lgkmcnt(0)
	v_add_f16_e32 v17, v11, v12
	v_add_f16_sdwa v18, v12, v11 dst_sel:DWORD dst_unused:UNUSED_PAD src0_sel:WORD_1 src1_sel:WORD_1
	v_sub_f16_e32 v19, v11, v12
	v_sub_f16_sdwa v11, v11, v12 dst_sel:DWORD dst_unused:UNUSED_PAD src0_sel:WORD_1 src1_sel:WORD_1
	s_waitcnt vmcnt(4)
	v_lshrrev_b32_e32 v12, 16, v4
	v_fma_f16 v20, v19, v12, v17
	v_fma_f16 v22, v18, v12, v11
	v_fma_f16 v17, -v19, v12, v17
	v_fma_f16 v11, v18, v12, -v11
	v_fma_f16 v12, -v4, v18, v20
	v_fma_f16 v20, v19, v4, v22
	v_fma_f16 v17, v4, v18, v17
	v_fma_f16 v4, v19, v4, v11
	v_pack_b32_f16 v11, v12, v20
	v_pack_b32_f16 v4, v17, v4
	ds_write_b32 v21, v11 offset:16
	ds_write_b32 v10, v4 offset:192
	ds_read_b32 v4, v21 offset:32
	ds_read_b32 v11, v10 offset:176
	s_waitcnt vmcnt(3)
	v_lshrrev_b32_e32 v12, 16, v13
	s_waitcnt lgkmcnt(0)
	v_add_f16_e32 v17, v4, v11
	v_add_f16_sdwa v18, v11, v4 dst_sel:DWORD dst_unused:UNUSED_PAD src0_sel:WORD_1 src1_sel:WORD_1
	v_sub_f16_e32 v19, v4, v11
	v_sub_f16_sdwa v4, v4, v11 dst_sel:DWORD dst_unused:UNUSED_PAD src0_sel:WORD_1 src1_sel:WORD_1
	v_fma_f16 v11, v19, v12, v17
	v_fma_f16 v20, v18, v12, v4
	v_fma_f16 v17, -v19, v12, v17
	v_fma_f16 v4, v18, v12, -v4
	v_fma_f16 v11, -v13, v18, v11
	v_fma_f16 v12, v19, v13, v20
	v_fma_f16 v17, v13, v18, v17
	v_fma_f16 v4, v19, v13, v4
	v_pack_b32_f16 v11, v11, v12
	v_pack_b32_f16 v4, v17, v4
	ds_write_b32 v21, v11 offset:32
	ds_write_b32 v10, v4 offset:176
	ds_read_b32 v4, v21 offset:48
	ds_read_b32 v11, v10 offset:160
	s_waitcnt vmcnt(2)
	v_lshrrev_b32_e32 v12, 16, v14
	s_waitcnt lgkmcnt(0)
	v_add_f16_e32 v13, v4, v11
	v_add_f16_sdwa v17, v11, v4 dst_sel:DWORD dst_unused:UNUSED_PAD src0_sel:WORD_1 src1_sel:WORD_1
	v_sub_f16_e32 v18, v4, v11
	v_sub_f16_sdwa v4, v4, v11 dst_sel:DWORD dst_unused:UNUSED_PAD src0_sel:WORD_1 src1_sel:WORD_1
	;; [unrolled: 21-line block ×3, first 2 shown]
	v_fma_f16 v11, v17, v12, v13
	v_fma_f16 v18, v14, v12, v4
	v_fma_f16 v13, -v17, v12, v13
	v_fma_f16 v4, v14, v12, -v4
	v_fma_f16 v11, -v15, v14, v11
	v_fma_f16 v12, v17, v15, v18
	v_fma_f16 v13, v15, v14, v13
	;; [unrolled: 1-line block ×3, first 2 shown]
	v_pack_b32_f16 v11, v11, v12
	v_pack_b32_f16 v4, v13, v4
	ds_write_b32 v21, v11 offset:64
	ds_write_b32 v10, v4 offset:144
	ds_read_b32 v4, v21 offset:80
	ds_read_b32 v11, v10 offset:128
	s_waitcnt vmcnt(0)
	v_lshrrev_b32_e32 v13, 16, v16
	v_or_b32_e32 v12, 24, v3
	v_cmp_gt_u32_e64 s[2:3], 26, v12
	s_waitcnt lgkmcnt(0)
	v_add_f16_e32 v14, v4, v11
	v_add_f16_sdwa v15, v11, v4 dst_sel:DWORD dst_unused:UNUSED_PAD src0_sel:WORD_1 src1_sel:WORD_1
	v_sub_f16_e32 v17, v4, v11
	v_sub_f16_sdwa v4, v4, v11 dst_sel:DWORD dst_unused:UNUSED_PAD src0_sel:WORD_1 src1_sel:WORD_1
	v_fma_f16 v11, v17, v13, v14
	v_fma_f16 v18, v15, v13, v4
	v_fma_f16 v14, -v17, v13, v14
	v_fma_f16 v4, v15, v13, -v4
	v_fma_f16 v11, -v16, v15, v11
	v_fma_f16 v13, v17, v16, v18
	v_fma_f16 v14, v16, v15, v14
	;; [unrolled: 1-line block ×3, first 2 shown]
	v_pack_b32_f16 v11, v11, v13
	v_pack_b32_f16 v4, v14, v4
	ds_write_b32 v21, v11 offset:80
	ds_write_b32 v10, v4 offset:128
	s_and_saveexec_b64 s[6:7], s[2:3]
	s_cbranch_execz .LBB0_21
; %bb.20:
	global_load_dword v4, v[7:8], off offset:96
	ds_read_b32 v7, v21 offset:96
	ds_read_b32 v8, v10 offset:112
	s_waitcnt lgkmcnt(0)
	v_add_f16_e32 v11, v7, v8
	v_add_f16_sdwa v12, v8, v7 dst_sel:DWORD dst_unused:UNUSED_PAD src0_sel:WORD_1 src1_sel:WORD_1
	v_sub_f16_e32 v13, v7, v8
	v_sub_f16_sdwa v7, v7, v8 dst_sel:DWORD dst_unused:UNUSED_PAD src0_sel:WORD_1 src1_sel:WORD_1
	s_waitcnt vmcnt(0)
	v_lshrrev_b32_e32 v8, 16, v4
	v_fma_f16 v14, v13, v8, v11
	v_fma_f16 v15, v12, v8, v7
	v_fma_f16 v11, -v13, v8, v11
	v_fma_f16 v7, v12, v8, -v7
	v_fma_f16 v8, -v4, v12, v14
	v_fma_f16 v14, v13, v4, v15
	v_fma_f16 v11, v4, v12, v11
	;; [unrolled: 1-line block ×3, first 2 shown]
	v_pack_b32_f16 v7, v8, v14
	v_pack_b32_f16 v4, v11, v4
	ds_write_b32 v21, v7 offset:96
	ds_write_b32 v10, v4 offset:112
.LBB0_21:
	s_or_b64 exec, exec, s[6:7]
	v_lshl_add_u32 v4, v3, 2, 0
	v_lshl_add_u32 v4, v9, 2, v4
	s_waitcnt lgkmcnt(0)
	; wave barrier
	s_waitcnt lgkmcnt(0)
	s_waitcnt lgkmcnt(0)
	; wave barrier
	s_waitcnt lgkmcnt(0)
	ds_read2_b32 v[14:15], v4 offset0:4 offset1:8
	ds_read2_b32 v[23:24], v4 offset0:12 offset1:16
	ds_read_b32 v12, v21
	ds_read2_b32 v[7:8], v4 offset0:20 offset1:24
	ds_read2_b32 v[9:10], v4 offset0:28 offset1:32
	;; [unrolled: 1-line block ×4, first 2 shown]
	s_waitcnt lgkmcnt(4)
	v_pk_add_f16 v13, v12, v14
	v_pk_add_f16 v13, v13, v15
	;; [unrolled: 1-line block ×4, first 2 shown]
	s_waitcnt lgkmcnt(3)
	v_pk_add_f16 v13, v13, v7
	v_pk_add_f16 v13, v13, v8
	s_waitcnt lgkmcnt(2)
	v_pk_add_f16 v13, v13, v9
	v_pk_add_f16 v13, v13, v10
	;; [unrolled: 3-line block ×4, first 2 shown]
	v_pk_add_f16 v18, v17, v14
	v_pk_add_f16 v17, v14, v17 neg_lo:[0,1] neg_hi:[0,1]
	s_mov_b32 s22, 0xb770
	v_pk_mul_f16 v14, v17, s22 op_sel_hi:[1,0]
	s_movk_i32 s9, 0x3b15
	v_pk_fma_f16 v13, v18, s9, v14 op_sel:[0,0,1] op_sel_hi:[1,0,0]
	v_pk_fma_f16 v14, v18, s9, v14 op_sel:[0,0,1] op_sel_hi:[1,0,0] neg_lo:[0,0,1] neg_hi:[0,0,1]
	s_mov_b32 s2, 0xffff
	v_bfi_b32 v19, s2, v13, v14
	s_mov_b32 s21, 0xba95
	v_pk_add_f16 v22, v12, v19
	v_mul_f16_sdwa v19, v17, s21 dst_sel:DWORD dst_unused:UNUSED_PAD src0_sel:WORD_1 src1_sel:DWORD
	s_movk_i32 s3, 0x388b
	v_fma_f16 v20, v18, s3, v19
	v_add_f16_e32 v27, v12, v20
	v_mul_f16_sdwa v20, v18, s3 dst_sel:DWORD dst_unused:UNUSED_PAD src0_sel:WORD_1 src1_sel:DWORD
	v_fma_f16 v19, v18, s3, -v19
	v_add_f16_e32 v29, v12, v19
	v_fma_f16 v19, v17, s21, v20
	s_mov_b32 s25, 0xbbf1
	s_movk_i32 s6, 0x3a95
	v_add_f16_sdwa v31, v12, v19 dst_sel:DWORD dst_unused:UNUSED_PAD src0_sel:WORD_1 src1_sel:DWORD
	v_mul_f16_sdwa v19, v17, s25 dst_sel:DWORD dst_unused:UNUSED_PAD src0_sel:WORD_1 src1_sel:DWORD
	s_movk_i32 s7, 0x2fb7
	v_fma_f16 v28, v17, s6, v20
	v_fma_f16 v20, v18, s7, v19
	v_add_f16_e32 v32, v12, v20
	v_mul_f16_sdwa v20, v18, s7 dst_sel:DWORD dst_unused:UNUSED_PAD src0_sel:WORD_1 src1_sel:DWORD
	v_fma_f16 v19, v18, s7, -v19
	v_add_f16_e32 v34, v12, v19
	v_fma_f16 v19, v17, s25, v20
	s_mov_b32 s14, 0xbb7b
	s_movk_i32 s8, 0x3bf1
	v_add_f16_sdwa v35, v12, v19 dst_sel:DWORD dst_unused:UNUSED_PAD src0_sel:WORD_1 src1_sel:DWORD
	v_mul_f16_sdwa v19, v17, s14 dst_sel:DWORD dst_unused:UNUSED_PAD src0_sel:WORD_1 src1_sel:DWORD
	s_mov_b32 s15, 0xb5ac
	v_fma_f16 v33, v17, s8, v20
	v_fma_f16 v20, v18, s15, v19
	v_add_f16_e32 v36, v12, v20
	v_mul_f16_sdwa v20, v18, s15 dst_sel:DWORD dst_unused:UNUSED_PAD src0_sel:WORD_1 src1_sel:DWORD
	v_fma_f16 v19, v18, s15, -v19
	v_add_f16_e32 v38, v12, v19
	v_fma_f16 v19, v17, s14, v20
	s_mov_b32 s16, 0xb94e
	s_movk_i32 s23, 0x3b7b
	v_add_f16_sdwa v39, v12, v19 dst_sel:DWORD dst_unused:UNUSED_PAD src0_sel:WORD_1 src1_sel:DWORD
	v_mul_f16_sdwa v19, v17, s16 dst_sel:DWORD dst_unused:UNUSED_PAD src0_sel:WORD_1 src1_sel:DWORD
	s_mov_b32 s17, 0xb9fd
	v_fma_f16 v37, v17, s23, v20
	v_fma_f16 v20, v18, s17, v19
	v_add_f16_e32 v40, v12, v20
	v_mul_f16_sdwa v20, v18, s17 dst_sel:DWORD dst_unused:UNUSED_PAD src0_sel:WORD_1 src1_sel:DWORD
	v_fma_f16 v19, v18, s17, -v19
	v_add_f16_e32 v42, v12, v19
	v_fma_f16 v19, v17, s16, v20
	s_movk_i32 s24, 0x394e
	v_add_f16_sdwa v43, v12, v19 dst_sel:DWORD dst_unused:UNUSED_PAD src0_sel:WORD_1 src1_sel:DWORD
	v_pk_add_f16 v19, v15, v16 neg_lo:[0,1] neg_hi:[0,1]
	v_fma_f16 v41, v17, s24, v20
	v_pk_add_f16 v20, v16, v15
	v_pk_mul_f16 v16, v19, s21 op_sel_hi:[1,0]
	v_pk_fma_f16 v15, v20, s3, v16 op_sel:[0,0,1] op_sel_hi:[1,0,0]
	v_pk_fma_f16 v16, v20, s3, v16 op_sel:[0,0,1] op_sel_hi:[1,0,0] neg_lo:[0,0,1] neg_hi:[0,0,1]
	v_bfi_b32 v44, s2, v15, v16
	v_pk_add_f16 v44, v44, v22
	v_mul_f16_sdwa v22, v19, s14 dst_sel:DWORD dst_unused:UNUSED_PAD src0_sel:WORD_1 src1_sel:DWORD
	v_fma_f16 v45, v20, s15, v22
	v_add_f16_e32 v45, v45, v27
	v_mul_f16_sdwa v27, v20, s15 dst_sel:DWORD dst_unused:UNUSED_PAD src0_sel:WORD_1 src1_sel:DWORD
	v_fma_f16 v22, v20, s15, -v22
	v_add_f16_e32 v29, v22, v29
	v_fma_f16 v22, v19, s14, v27
	s_mov_b32 s18, 0xb3a8
	v_add_f16_e32 v31, v22, v31
	v_mul_f16_sdwa v22, v19, s18 dst_sel:DWORD dst_unused:UNUSED_PAD src0_sel:WORD_1 src1_sel:DWORD
	s_mov_b32 s19, 0xbbc4
	v_fma_f16 v46, v19, s23, v27
	v_fma_f16 v27, v20, s19, v22
	v_add_f16_e32 v32, v27, v32
	v_mul_f16_sdwa v27, v20, s19 dst_sel:DWORD dst_unused:UNUSED_PAD src0_sel:WORD_1 src1_sel:DWORD
	v_fma_f16 v22, v20, s19, -v22
	v_add_f16_e32 v34, v22, v34
	v_fma_f16 v22, v19, s18, v27
	v_add_f16_sdwa v28, v12, v28 dst_sel:DWORD dst_unused:UNUSED_PAD src0_sel:WORD_1 src1_sel:DWORD
	s_movk_i32 s26, 0x33a8
	v_add_f16_e32 v35, v22, v35
	v_mul_f16_sdwa v22, v19, s24 dst_sel:DWORD dst_unused:UNUSED_PAD src0_sel:WORD_1 src1_sel:DWORD
	v_add_f16_e32 v28, v46, v28
	v_fma_f16 v46, v19, s26, v27
	v_fma_f16 v27, v20, s17, v22
	v_add_f16_e32 v36, v27, v36
	v_mul_f16_sdwa v27, v20, s17 dst_sel:DWORD dst_unused:UNUSED_PAD src0_sel:WORD_1 src1_sel:DWORD
	v_fma_f16 v22, v20, s17, -v22
	v_add_f16_e32 v38, v22, v38
	v_fma_f16 v22, v19, s24, v27
	v_add_f16_sdwa v33, v12, v33 dst_sel:DWORD dst_unused:UNUSED_PAD src0_sel:WORD_1 src1_sel:DWORD
	v_add_f16_e32 v39, v22, v39
	v_mul_f16_sdwa v22, v19, s8 dst_sel:DWORD dst_unused:UNUSED_PAD src0_sel:WORD_1 src1_sel:DWORD
	v_add_f16_e32 v33, v46, v33
	v_fma_f16 v46, v19, s16, v27
	v_fma_f16 v27, v20, s7, v22
	v_add_f16_sdwa v37, v12, v37 dst_sel:DWORD dst_unused:UNUSED_PAD src0_sel:WORD_1 src1_sel:DWORD
	v_add_f16_e32 v40, v27, v40
	v_mul_f16_sdwa v27, v20, s7 dst_sel:DWORD dst_unused:UNUSED_PAD src0_sel:WORD_1 src1_sel:DWORD
	v_fma_f16 v22, v20, s7, -v22
	v_add_f16_e32 v37, v46, v37
	v_fma_f16 v46, v19, s25, v27
	v_add_f16_e32 v42, v22, v42
	v_fma_f16 v22, v19, s8, v27
	v_pk_add_f16 v27, v26, v23
	v_pk_add_f16 v26, v23, v26 neg_lo:[0,1] neg_hi:[0,1]
	v_pk_mul_f16 v23, v26, s25 op_sel_hi:[1,0]
	v_add_f16_sdwa v41, v12, v41 dst_sel:DWORD dst_unused:UNUSED_PAD src0_sel:WORD_1 src1_sel:DWORD
	v_add_f16_e32 v43, v22, v43
	v_pk_fma_f16 v22, v27, s7, v23 op_sel:[0,0,1] op_sel_hi:[1,0,0]
	v_pk_fma_f16 v23, v27, s7, v23 op_sel:[0,0,1] op_sel_hi:[1,0,0] neg_lo:[0,0,1] neg_hi:[0,0,1]
	v_add_f16_e32 v41, v46, v41
	v_bfi_b32 v46, s2, v22, v23
	v_pk_add_f16 v44, v46, v44
	v_mul_f16_sdwa v46, v26, s18 dst_sel:DWORD dst_unused:UNUSED_PAD src0_sel:WORD_1 src1_sel:DWORD
	v_fma_f16 v47, v27, s19, v46
	v_add_f16_e32 v45, v47, v45
	v_mul_f16_sdwa v47, v27, s19 dst_sel:DWORD dst_unused:UNUSED_PAD src0_sel:WORD_1 src1_sel:DWORD
	v_fma_f16 v48, v26, s26, v47
	v_add_f16_e32 v48, v48, v28
	v_fma_f16 v28, v27, s19, -v46
	v_add_f16_e32 v46, v28, v29
	v_fma_f16 v28, v26, s18, v47
	v_add_f16_e32 v31, v28, v31
	v_mul_f16_sdwa v28, v26, s23 dst_sel:DWORD dst_unused:UNUSED_PAD src0_sel:WORD_1 src1_sel:DWORD
	v_fma_f16 v29, v27, s15, v28
	v_add_f16_e32 v32, v29, v32
	v_mul_f16_sdwa v29, v27, s15 dst_sel:DWORD dst_unused:UNUSED_PAD src0_sel:WORD_1 src1_sel:DWORD
	v_fma_f16 v28, v27, s15, -v28
	v_add_f16_e32 v34, v28, v34
	v_fma_f16 v28, v26, s23, v29
	s_movk_i32 s20, 0x3770
	v_add_f16_e32 v35, v28, v35
	v_mul_f16_sdwa v28, v26, s20 dst_sel:DWORD dst_unused:UNUSED_PAD src0_sel:WORD_1 src1_sel:DWORD
	v_fma_f16 v47, v26, s14, v29
	v_fma_f16 v29, v27, s9, v28
	v_add_f16_e32 v36, v29, v36
	v_mul_f16_sdwa v29, v27, s9 dst_sel:DWORD dst_unused:UNUSED_PAD src0_sel:WORD_1 src1_sel:DWORD
	v_fma_f16 v28, v27, s9, -v28
	v_add_f16_e32 v38, v28, v38
	v_fma_f16 v28, v26, s20, v29
	v_add_f16_e32 v39, v28, v39
	v_mul_f16_sdwa v28, v26, s21 dst_sel:DWORD dst_unused:UNUSED_PAD src0_sel:WORD_1 src1_sel:DWORD
	v_add_f16_e32 v33, v47, v33
	v_fma_f16 v47, v26, s22, v29
	v_fma_f16 v29, v27, s3, v28
	v_add_f16_e32 v40, v29, v40
	v_mul_f16_sdwa v29, v27, s3 dst_sel:DWORD dst_unused:UNUSED_PAD src0_sel:WORD_1 src1_sel:DWORD
	v_fma_f16 v28, v27, s3, -v28
	v_add_f16_e32 v42, v28, v42
	v_fma_f16 v28, v26, s21, v29
	v_add_f16_e32 v43, v28, v43
	v_pk_add_f16 v28, v24, v25 neg_lo:[0,1] neg_hi:[0,1]
	v_add_f16_e32 v37, v47, v37
	v_fma_f16 v47, v26, s6, v29
	v_pk_add_f16 v29, v25, v24
	v_pk_mul_f16 v25, v28, s14 op_sel_hi:[1,0]
	v_pk_fma_f16 v24, v29, s15, v25 op_sel:[0,0,1] op_sel_hi:[1,0,0]
	v_pk_fma_f16 v25, v29, s15, v25 op_sel:[0,0,1] op_sel_hi:[1,0,0] neg_lo:[0,0,1] neg_hi:[0,0,1]
	v_add_f16_e32 v41, v47, v41
	v_bfi_b32 v47, s2, v24, v25
	v_pk_add_f16 v44, v47, v44
	v_mul_f16_sdwa v47, v28, s24 dst_sel:DWORD dst_unused:UNUSED_PAD src0_sel:WORD_1 src1_sel:DWORD
	v_fma_f16 v49, v29, s17, v47
	v_add_f16_e32 v45, v49, v45
	v_mul_f16_sdwa v49, v29, s17 dst_sel:DWORD dst_unused:UNUSED_PAD src0_sel:WORD_1 src1_sel:DWORD
	v_fma_f16 v47, v29, s17, -v47
	v_add_f16_e32 v46, v47, v46
	v_fma_f16 v47, v28, s24, v49
	v_add_f16_e32 v47, v47, v31
	v_mul_f16_sdwa v31, v28, s20 dst_sel:DWORD dst_unused:UNUSED_PAD src0_sel:WORD_1 src1_sel:DWORD
	v_fma_f16 v50, v28, s16, v49
	v_fma_f16 v49, v29, s9, v31
	v_add_f16_e32 v49, v49, v32
	v_mul_f16_sdwa v32, v29, s9 dst_sel:DWORD dst_unused:UNUSED_PAD src0_sel:WORD_1 src1_sel:DWORD
	v_fma_f16 v31, v29, s9, -v31
	v_add_f16_e32 v34, v31, v34
	v_fma_f16 v31, v28, s20, v32
	v_add_f16_e32 v35, v31, v35
	v_mul_f16_sdwa v31, v28, s25 dst_sel:DWORD dst_unused:UNUSED_PAD src0_sel:WORD_1 src1_sel:DWORD
	v_add_f16_e32 v48, v50, v48
	v_fma_f16 v50, v28, s22, v32
	v_fma_f16 v32, v29, s7, v31
	v_add_f16_e32 v36, v32, v36
	v_mul_f16_sdwa v32, v29, s7 dst_sel:DWORD dst_unused:UNUSED_PAD src0_sel:WORD_1 src1_sel:DWORD
	v_fma_f16 v31, v29, s7, -v31
	v_add_f16_e32 v38, v31, v38
	v_fma_f16 v31, v28, s25, v32
	v_add_f16_e32 v39, v31, v39
	v_mul_f16_sdwa v31, v28, s26 dst_sel:DWORD dst_unused:UNUSED_PAD src0_sel:WORD_1 src1_sel:DWORD
	v_add_f16_e32 v33, v50, v33
	v_fma_f16 v50, v28, s8, v32
	v_fma_f16 v32, v29, s19, v31
	v_add_f16_e32 v40, v32, v40
	v_mul_f16_sdwa v32, v29, s19 dst_sel:DWORD dst_unused:UNUSED_PAD src0_sel:WORD_1 src1_sel:DWORD
	v_fma_f16 v31, v29, s19, -v31
	v_add_f16_e32 v42, v31, v42
	v_fma_f16 v31, v28, s26, v32
	v_add_f16_e32 v43, v31, v43
	v_pk_add_f16 v31, v7, v10 neg_lo:[0,1] neg_hi:[0,1]
	v_add_f16_e32 v37, v50, v37
	v_fma_f16 v50, v28, s18, v32
	v_pk_add_f16 v32, v10, v7
	v_pk_mul_f16 v10, v31, s16 op_sel_hi:[1,0]
	v_pk_fma_f16 v7, v32, s17, v10 op_sel:[0,0,1] op_sel_hi:[1,0,0]
	v_pk_fma_f16 v10, v32, s17, v10 op_sel:[0,0,1] op_sel_hi:[1,0,0] neg_lo:[0,0,1] neg_hi:[0,0,1]
	v_add_f16_e32 v41, v50, v41
	v_bfi_b32 v50, s2, v7, v10
	v_pk_add_f16 v44, v50, v44
	v_mul_f16_sdwa v50, v31, s8 dst_sel:DWORD dst_unused:UNUSED_PAD src0_sel:WORD_1 src1_sel:DWORD
	v_fma_f16 v51, v32, s7, v50
	v_add_f16_e32 v45, v51, v45
	v_mul_f16_sdwa v51, v32, s7 dst_sel:DWORD dst_unused:UNUSED_PAD src0_sel:WORD_1 src1_sel:DWORD
	v_fma_f16 v50, v32, s7, -v50
	v_add_f16_e32 v46, v50, v46
	v_fma_f16 v50, v31, s8, v51
	v_add_f16_e32 v47, v50, v47
	v_mul_f16_sdwa v50, v31, s21 dst_sel:DWORD dst_unused:UNUSED_PAD src0_sel:WORD_1 src1_sel:DWORD
	v_fma_f16 v52, v31, s25, v51
	v_fma_f16 v51, v32, s3, v50
	v_add_f16_e32 v49, v51, v49
	v_mul_f16_sdwa v51, v32, s3 dst_sel:DWORD dst_unused:UNUSED_PAD src0_sel:WORD_1 src1_sel:DWORD
	v_add_f16_e32 v48, v52, v48
	v_fma_f16 v52, v31, s6, v51
	v_add_f16_e32 v52, v52, v33
	v_fma_f16 v33, v32, s3, -v50
	v_add_f16_e32 v50, v33, v34
	v_fma_f16 v33, v31, s21, v51
	v_add_f16_e32 v51, v33, v35
	v_mul_f16_sdwa v33, v31, s26 dst_sel:DWORD dst_unused:UNUSED_PAD src0_sel:WORD_1 src1_sel:DWORD
	v_fma_f16 v34, v32, s19, v33
	v_add_f16_e32 v53, v34, v36
	v_mul_f16_sdwa v34, v32, s19 dst_sel:DWORD dst_unused:UNUSED_PAD src0_sel:WORD_1 src1_sel:DWORD
	v_fma_f16 v33, v32, s19, -v33
	v_add_f16_e32 v55, v33, v38
	v_fma_f16 v33, v31, s26, v34
	v_fma_f16 v35, v31, s18, v34
	v_add_f16_e32 v56, v33, v39
	v_mul_f16_sdwa v33, v31, s20 dst_sel:DWORD dst_unused:UNUSED_PAD src0_sel:WORD_1 src1_sel:DWORD
	v_add_f16_e32 v54, v35, v37
	v_fma_f16 v34, v32, s9, v33
	v_pk_add_f16 v37, v8, v9 neg_lo:[0,1] neg_hi:[0,1]
	v_add_f16_e32 v57, v34, v40
	v_mul_f16_sdwa v34, v32, s9 dst_sel:DWORD dst_unused:UNUSED_PAD src0_sel:WORD_1 src1_sel:DWORD
	v_fma_f16 v33, v32, s9, -v33
	v_pk_add_f16 v38, v9, v8
	v_pk_mul_f16 v9, v37, s18 op_sel_hi:[1,0]
	v_add_f16_e32 v42, v33, v42
	v_fma_f16 v33, v31, s20, v34
	v_pk_fma_f16 v8, v38, s19, v9 op_sel:[0,0,1] op_sel_hi:[1,0,0]
	v_pk_fma_f16 v9, v38, s19, v9 op_sel:[0,0,1] op_sel_hi:[1,0,0] neg_lo:[0,0,1] neg_hi:[0,0,1]
	v_add_f16_e32 v43, v33, v43
	v_bfi_b32 v33, s2, v8, v9
	v_pk_add_f16 v44, v33, v44
	v_mul_f16_sdwa v33, v37, s20 dst_sel:DWORD dst_unused:UNUSED_PAD src0_sel:WORD_1 src1_sel:DWORD
	v_fma_f16 v35, v31, s22, v34
	v_fma_f16 v34, v38, s9, v33
	v_add_f16_e32 v45, v34, v45
	v_mul_f16_sdwa v34, v38, s9 dst_sel:DWORD dst_unused:UNUSED_PAD src0_sel:WORD_1 src1_sel:DWORD
	v_add_f16_e32 v41, v35, v41
	v_fma_f16 v35, v37, s22, v34
	v_add_f16_e32 v48, v35, v48
	v_mul_f16_sdwa v35, v37, s16 dst_sel:DWORD dst_unused:UNUSED_PAD src0_sel:WORD_1 src1_sel:DWORD
	v_fma_f16 v33, v38, s9, -v33
	v_fma_f16 v36, v38, s17, v35
	v_add_f16_e32 v33, v33, v46
	v_add_f16_e32 v46, v36, v49
	v_mul_f16_sdwa v36, v38, s17 dst_sel:DWORD dst_unused:UNUSED_PAD src0_sel:WORD_1 src1_sel:DWORD
	v_fma_f16 v34, v37, s20, v34
	v_fma_f16 v39, v37, s24, v36
	v_add_f16_e32 v34, v34, v47
	v_add_f16_e32 v47, v39, v52
	v_mul_f16_sdwa v39, v37, s6 dst_sel:DWORD dst_unused:UNUSED_PAD src0_sel:WORD_1 src1_sel:DWORD
	v_fma_f16 v40, v38, s3, v39
	v_fma_f16 v35, v38, s17, -v35
	v_add_f16_e32 v49, v40, v53
	v_mul_f16_sdwa v40, v38, s3 dst_sel:DWORD dst_unused:UNUSED_PAD src0_sel:WORD_1 src1_sel:DWORD
	v_add_f16_e32 v35, v35, v50
	v_fma_f16 v36, v37, s16, v36
	v_fma_f16 v50, v37, s21, v40
	v_mul_f16_sdwa v53, v38, s15 dst_sel:DWORD dst_unused:UNUSED_PAD src0_sel:WORD_1 src1_sel:DWORD
	v_add_f16_e32 v36, v36, v51
	v_add_f16_e32 v50, v50, v54
	v_mul_f16_sdwa v51, v37, s14 dst_sel:DWORD dst_unused:UNUSED_PAD src0_sel:WORD_1 src1_sel:DWORD
	v_fma_f16 v54, v37, s23, v53
	v_add_f16_e32 v54, v54, v41
	v_fma_f16 v41, v38, s15, -v51
	v_mad_u32_u24 v11, v3, 48, v4
	v_fma_f16 v52, v38, s15, v51
	v_add_f16_e32 v41, v41, v42
	v_fma_f16 v42, v37, s14, v53
	v_add_f16_e32 v52, v52, v57
	v_add_f16_e32 v42, v42, v43
	s_waitcnt lgkmcnt(0)
	; wave barrier
	ds_write2_b32 v11, v30, v44 offset1:1
	v_pack_b32_f16 v30, v46, v47
	v_pack_b32_f16 v43, v45, v48
	ds_write2_b32 v11, v43, v30 offset0:2 offset1:3
	v_pack_b32_f16 v30, v52, v54
	v_pack_b32_f16 v43, v49, v50
	v_pk_mul_f16 v18, v18, s19 op_sel_hi:[1,0]
	ds_write2_b32 v11, v43, v30 offset0:4 offset1:5
	v_pk_fma_f16 v30, v17, s18, v18 op_sel:[0,0,1] op_sel_hi:[1,0,0]
	v_pk_fma_f16 v17, v17, s18, v18 op_sel:[0,0,1] op_sel_hi:[1,0,0] neg_lo:[1,0,0] neg_hi:[1,0,0]
	v_alignbit_b32 v18, s0, v12, 16
	v_pk_mul_f16 v20, v20, s9 op_sel_hi:[1,0]
	v_alignbit_b32 v43, s0, v30, 16
	v_pk_add_f16 v17, v12, v17 op_sel:[1,0] op_sel_hi:[0,1]
	v_pk_add_f16 v18, v18, v30
	v_pk_fma_f16 v30, v19, s20, v20 op_sel:[0,0,1] op_sel_hi:[1,0,0]
	v_pk_fma_f16 v19, v19, s20, v20 op_sel:[0,0,1] op_sel_hi:[1,0,0] neg_lo:[1,0,0] neg_hi:[1,0,0]
	v_pk_add_f16 v17, v19, v17
	v_pk_mul_f16 v19, v27, s17 op_sel_hi:[1,0]
	v_pk_fma_f16 v20, v26, s16, v19 op_sel:[0,0,1] op_sel_hi:[1,0,0]
	v_pk_fma_f16 v19, v26, s16, v19 op_sel:[0,0,1] op_sel_hi:[1,0,0] neg_lo:[1,0,0] neg_hi:[1,0,0]
	v_pk_add_f16 v18, v30, v18
	v_pk_add_f16 v17, v19, v17
	v_pk_mul_f16 v19, v29, s3 op_sel_hi:[1,0]
	v_alignbit_b32 v27, s0, v20, 16
	v_pk_add_f16 v18, v20, v18
	v_pk_fma_f16 v20, v28, s6, v19 op_sel:[0,0,1] op_sel_hi:[1,0,0]
	v_pk_fma_f16 v19, v28, s6, v19 op_sel:[0,0,1] op_sel_hi:[1,0,0] neg_lo:[1,0,0] neg_hi:[1,0,0]
	v_pk_add_f16 v43, v12, v43
	v_alignbit_b32 v44, s0, v30, 16
	v_pk_add_f16 v17, v19, v17
	v_pk_mul_f16 v19, v32, s15 op_sel_hi:[1,0]
	v_pk_add_f16 v43, v44, v43
	v_alignbit_b32 v26, s0, v20, 16
	v_pk_add_f16 v18, v20, v18
	v_pk_fma_f16 v20, v31, s14, v19 op_sel:[0,0,1] op_sel_hi:[1,0,0]
	v_pk_fma_f16 v19, v31, s14, v19 op_sel:[0,0,1] op_sel_hi:[1,0,0] neg_lo:[1,0,0] neg_hi:[1,0,0]
	v_pk_add_f16 v27, v27, v43
	v_pk_add_f16 v17, v19, v17
	v_pk_mul_f16 v19, v38, s7 op_sel_hi:[1,0]
	v_bfi_b32 v13, s2, v14, v13
	v_pk_add_f16 v26, v26, v27
	v_alignbit_b32 v27, s0, v20, 16
	v_pk_add_f16 v18, v20, v18
	v_pk_fma_f16 v20, v37, s8, v19 op_sel:[0,0,1] op_sel_hi:[1,0,0]
	v_pk_add_f16 v12, v12, v13
	v_bfi_b32 v13, s2, v16, v15
	v_pk_add_f16 v26, v27, v26
	v_alignbit_b32 v27, s0, v20, 16
	v_pk_fma_f16 v19, v37, s8, v19 op_sel:[0,0,1] op_sel_hi:[1,0,0] neg_lo:[1,0,0] neg_hi:[1,0,0]
	v_pk_add_f16 v12, v13, v12
	v_bfi_b32 v13, s2, v23, v22
	v_fma_f16 v39, v38, s3, -v39
	v_fma_f16 v40, v37, s6, v40
	v_pk_add_f16 v26, v27, v26
	v_pk_add_f16 v17, v19, v17
	;; [unrolled: 1-line block ×4, first 2 shown]
	v_bfi_b32 v13, s2, v25, v24
	v_add_f16_e32 v39, v39, v55
	v_add_f16_e32 v40, v40, v56
	v_alignbit_b32 v18, v18, v17, 16
	v_pack_b32_f16 v17, v26, v17
	v_pk_add_f16 v12, v13, v12
	v_bfi_b32 v7, s2, v10, v7
	ds_write2_b32 v11, v17, v18 offset0:6 offset1:7
	v_pack_b32_f16 v17, v39, v40
	v_pack_b32_f16 v18, v41, v42
	v_pk_add_f16 v7, v7, v12
	v_bfi_b32 v8, s2, v9, v8
	ds_write2_b32 v11, v18, v17 offset0:8 offset1:9
	v_pack_b32_f16 v17, v33, v34
	v_pack_b32_f16 v18, v35, v36
	v_pk_add_f16 v7, v8, v7
	ds_write2_b32 v11, v18, v17 offset0:10 offset1:11
	ds_write_b32 v11, v7 offset:48
	s_waitcnt lgkmcnt(0)
	; wave barrier
	s_waitcnt lgkmcnt(0)
	ds_read2_b32 v[11:12], v4 offset0:4 offset1:8
	ds_read2_b32 v[19:20], v4 offset0:13 offset1:17
	;; [unrolled: 1-line block ×5, first 2 shown]
	ds_read_b32 v26, v21
	ds_read_b32 v27, v4 offset:188
	v_lshrrev_b32_e32 v21, 16, v7
                                        ; implicit-def: $vgpr22
                                        ; implicit-def: $vgpr23
                                        ; implicit-def: $vgpr9
                                        ; implicit-def: $vgpr24
	s_and_saveexec_b64 s[2:3], s[0:1]
	s_cbranch_execz .LBB0_23
; %bb.22:
	ds_read2_b32 v[7:8], v0 offset0:12 offset1:25
	ds_read2_b32 v[9:10], v0 offset0:38 offset1:51
	s_waitcnt lgkmcnt(1)
	v_lshrrev_b32_e32 v21, 16, v7
	v_lshrrev_b32_e32 v22, 16, v8
	s_waitcnt lgkmcnt(0)
	v_lshrrev_b32_e32 v23, 16, v9
	v_lshrrev_b32_e32 v24, 16, v10
.LBB0_23:
	s_or_b64 exec, exec, s[2:3]
	v_mul_u32_u24_e32 v25, 3, v3
	v_lshlrev_b32_e32 v43, 2, v25
	global_load_dwordx3 v[28:30], v43, s[12:13]
	s_waitcnt lgkmcnt(5)
	v_lshrrev_b32_e32 v42, 16, v19
	s_waitcnt lgkmcnt(4)
	v_lshrrev_b32_e32 v41, 16, v14
	;; [unrolled: 2-line block ×3, first 2 shown]
	v_lshrrev_b32_e32 v39, 16, v20
	s_waitcnt lgkmcnt(2)
	v_lshrrev_b32_e32 v38, 16, v15
	v_lshrrev_b32_e32 v37, 16, v18
	;; [unrolled: 1-line block ×4, first 2 shown]
	s_waitcnt lgkmcnt(0)
	v_lshrrev_b32_e32 v34, 16, v27
	v_lshrrev_b32_e32 v31, 16, v26
	;; [unrolled: 1-line block ×4, first 2 shown]
	s_waitcnt vmcnt(0)
	v_mul_f16_sdwa v44, v28, v42 dst_sel:DWORD dst_unused:UNUSED_PAD src0_sel:WORD_1 src1_sel:DWORD
	v_fma_f16 v44, v28, v19, v44
	v_mul_f16_sdwa v19, v28, v19 dst_sel:DWORD dst_unused:UNUSED_PAD src0_sel:WORD_1 src1_sel:DWORD
	v_fma_f16 v42, v28, v42, -v19
	v_mul_f16_sdwa v19, v29, v41 dst_sel:DWORD dst_unused:UNUSED_PAD src0_sel:WORD_1 src1_sel:DWORD
	v_fma_f16 v45, v29, v14, v19
	v_mul_f16_sdwa v14, v29, v14 dst_sel:DWORD dst_unused:UNUSED_PAD src0_sel:WORD_1 src1_sel:DWORD
	v_mul_f16_sdwa v19, v30, v40 dst_sel:DWORD dst_unused:UNUSED_PAD src0_sel:WORD_1 src1_sel:DWORD
	v_fma_f16 v14, v29, v41, -v14
	v_fma_f16 v41, v30, v17, v19
	v_mul_f16_sdwa v17, v30, v17 dst_sel:DWORD dst_unused:UNUSED_PAD src0_sel:WORD_1 src1_sel:DWORD
	v_fma_f16 v40, v30, v40, -v17
	global_load_dwordx3 v[28:30], v43, s[12:13] offset:48
	v_sub_f16_e32 v14, v31, v14
	v_fma_f16 v31, v31, 2.0, -v14
	s_waitcnt vmcnt(0)
	v_mul_f16_sdwa v17, v28, v39 dst_sel:DWORD dst_unused:UNUSED_PAD src0_sel:WORD_1 src1_sel:DWORD
	v_fma_f16 v46, v28, v20, v17
	v_mul_f16_sdwa v17, v28, v20 dst_sel:DWORD dst_unused:UNUSED_PAD src0_sel:WORD_1 src1_sel:DWORD
	v_fma_f16 v20, v28, v39, -v17
	v_mul_f16_sdwa v17, v29, v38 dst_sel:DWORD dst_unused:UNUSED_PAD src0_sel:WORD_1 src1_sel:DWORD
	v_fma_f16 v28, v29, v15, v17
	v_mul_f16_sdwa v15, v29, v15 dst_sel:DWORD dst_unused:UNUSED_PAD src0_sel:WORD_1 src1_sel:DWORD
	v_mul_f16_sdwa v17, v30, v37 dst_sel:DWORD dst_unused:UNUSED_PAD src0_sel:WORD_1 src1_sel:DWORD
	v_fma_f16 v15, v29, v38, -v15
	v_fma_f16 v29, v30, v18, v17
	v_mul_f16_sdwa v17, v30, v18 dst_sel:DWORD dst_unused:UNUSED_PAD src0_sel:WORD_1 src1_sel:DWORD
	v_fma_f16 v30, v30, v37, -v17
	global_load_dwordx3 v[17:19], v43, s[12:13] offset:96
	v_sub_f16_e32 v28, v11, v28
	v_sub_f16_e32 v15, v32, v15
	;; [unrolled: 1-line block ×4, first 2 shown]
	v_fma_f16 v11, v11, 2.0, -v28
	v_fma_f16 v32, v32, 2.0, -v15
	;; [unrolled: 1-line block ×4, first 2 shown]
	v_sub_f16_e32 v39, v11, v39
	v_sub_f16_e32 v20, v32, v20
	v_fma_f16 v11, v11, 2.0, -v39
	v_fma_f16 v32, v32, 2.0, -v20
	v_add_f16_e32 v30, v28, v30
	v_sub_f16_e32 v29, v15, v29
	v_fma_f16 v28, v28, 2.0, -v30
	v_fma_f16 v15, v15, 2.0, -v29
	v_pack_b32_f16 v11, v11, v32
	s_waitcnt lgkmcnt(0)
	; wave barrier
	s_waitcnt vmcnt(0)
	v_mul_f16_sdwa v37, v17, v36 dst_sel:DWORD dst_unused:UNUSED_PAD src0_sel:WORD_1 src1_sel:DWORD
	v_fma_f16 v37, v17, v13, v37
	v_mul_f16_sdwa v13, v17, v13 dst_sel:DWORD dst_unused:UNUSED_PAD src0_sel:WORD_1 src1_sel:DWORD
	v_fma_f16 v13, v17, v36, -v13
	v_mul_f16_sdwa v17, v18, v35 dst_sel:DWORD dst_unused:UNUSED_PAD src0_sel:WORD_1 src1_sel:DWORD
	v_fma_f16 v17, v18, v16, v17
	v_mul_f16_sdwa v16, v18, v16 dst_sel:DWORD dst_unused:UNUSED_PAD src0_sel:WORD_1 src1_sel:DWORD
	v_fma_f16 v16, v18, v35, -v16
	v_mul_f16_sdwa v18, v34, v19 dst_sel:DWORD dst_unused:UNUSED_PAD src0_sel:DWORD src1_sel:WORD_1
	v_fma_f16 v18, v27, v19, v18
	v_mul_f16_sdwa v27, v27, v19 dst_sel:DWORD dst_unused:UNUSED_PAD src0_sel:DWORD src1_sel:WORD_1
	v_fma_f16 v19, v34, v19, -v27
	v_sub_f16_e32 v27, v26, v45
	v_sub_f16_e32 v34, v44, v41
	;; [unrolled: 1-line block ×7, first 2 shown]
	v_fma_f16 v26, v26, 2.0, -v27
	v_fma_f16 v36, v44, 2.0, -v34
	v_fma_f16 v38, v42, 2.0, -v35
	v_fma_f16 v12, v12, 2.0, -v17
	v_fma_f16 v33, v33, 2.0, -v16
	v_fma_f16 v37, v37, 2.0, -v18
	v_fma_f16 v13, v13, 2.0, -v19
	v_sub_f16_e32 v36, v26, v36
	v_sub_f16_e32 v38, v31, v38
	v_add_f16_e32 v35, v27, v35
	v_sub_f16_e32 v34, v14, v34
	v_sub_f16_e32 v37, v12, v37
	;; [unrolled: 1-line block ×3, first 2 shown]
	v_fma_f16 v26, v26, 2.0, -v36
	v_fma_f16 v31, v31, 2.0, -v38
	;; [unrolled: 1-line block ×6, first 2 shown]
	v_add_f16_e32 v19, v17, v19
	v_sub_f16_e32 v18, v16, v18
	v_fma_f16 v17, v17, 2.0, -v19
	v_fma_f16 v16, v16, 2.0, -v18
	v_pack_b32_f16 v26, v26, v31
	v_pack_b32_f16 v14, v27, v14
	;; [unrolled: 1-line block ×3, first 2 shown]
	ds_write2_b32 v4, v26, v11 offset1:4
	v_pack_b32_f16 v11, v28, v15
	ds_write2_b32 v4, v12, v14 offset0:8 offset1:13
	v_pack_b32_f16 v12, v17, v16
	v_pack_b32_f16 v15, v39, v20
	ds_write2_b32 v4, v11, v12 offset0:17 offset1:21
	v_pack_b32_f16 v11, v37, v13
	v_pack_b32_f16 v27, v36, v38
	;; [unrolled: 1-line block ×4, first 2 shown]
	ds_write2_b32 v4, v15, v11 offset0:30 offset1:34
	v_pack_b32_f16 v11, v19, v18
	ds_write2_b32 v4, v27, v31 offset0:26 offset1:39
	ds_write2_b32 v4, v20, v11 offset0:43 offset1:47
	s_and_saveexec_b64 s[2:3], s[0:1]
	s_cbranch_execz .LBB0_25
; %bb.24:
	v_add_u32_e32 v4, -3, v25
	v_cndmask_b32_e64 v11, v4, 36, s[0:1]
	v_mov_b32_e32 v12, 0
	v_lshlrev_b64 v[11:12], 2, v[11:12]
	v_mov_b32_e32 v4, s13
	v_add_co_u32_e64 v11, s[0:1], s12, v11
	v_addc_co_u32_e64 v12, s[0:1], v4, v12, s[0:1]
	global_load_dwordx3 v[11:13], v[11:12], off
	s_waitcnt vmcnt(0)
	v_mul_f16_sdwa v4, v23, v12 dst_sel:DWORD dst_unused:UNUSED_PAD src0_sel:DWORD src1_sel:WORD_1
	v_mul_f16_sdwa v14, v8, v11 dst_sel:DWORD dst_unused:UNUSED_PAD src0_sel:DWORD src1_sel:WORD_1
	;; [unrolled: 1-line block ×6, first 2 shown]
	v_fma_f16 v4, v9, v12, v4
	v_fma_f16 v9, v22, v11, -v14
	v_fma_f16 v14, v24, v13, -v15
	;; [unrolled: 1-line block ×3, first 2 shown]
	v_fma_f16 v8, v8, v11, v17
	v_fma_f16 v10, v10, v13, v18
	v_sub_f16_e32 v4, v7, v4
	v_sub_f16_e32 v11, v9, v14
	v_sub_f16_e32 v12, v21, v12
	v_sub_f16_e32 v10, v8, v10
	v_sub_f16_e32 v14, v12, v10
	v_fma_f16 v7, v7, 2.0, -v4
	v_fma_f16 v8, v8, 2.0, -v10
	;; [unrolled: 1-line block ×4, first 2 shown]
	v_add_f16_e32 v13, v4, v11
	v_sub_f16_e32 v8, v7, v8
	v_sub_f16_e32 v9, v10, v9
	v_fma_f16 v4, v4, 2.0, -v13
	v_fma_f16 v11, v12, 2.0, -v14
	v_fma_f16 v7, v7, 2.0, -v8
	v_fma_f16 v10, v10, 2.0, -v9
	v_pack_b32_f16 v4, v4, v11
	v_pack_b32_f16 v7, v7, v10
	;; [unrolled: 1-line block ×4, first 2 shown]
	ds_write2_b32 v0, v7, v4 offset0:12 offset1:25
	ds_write2_b32 v0, v8, v12 offset0:38 offset1:51
.LBB0_25:
	s_or_b64 exec, exec, s[2:3]
	s_waitcnt lgkmcnt(0)
	; wave barrier
	s_waitcnt lgkmcnt(0)
	s_and_saveexec_b64 s[0:1], vcc
	s_cbranch_execz .LBB0_27
; %bb.26:
	v_mul_lo_u32 v4, s5, v5
	v_mul_lo_u32 v7, s4, v6
	v_mad_u64_u32 v[5:6], s[0:1], s4, v5, 0
	v_lshl_add_u32 v9, v3, 2, v0
	v_mov_b32_e32 v0, s11
	v_add3_u32 v6, v6, v7, v4
	v_lshlrev_b64 v[5:6], 2, v[5:6]
	v_mov_b32_e32 v4, 0
	v_add_co_u32_e32 v5, vcc, s10, v5
	v_addc_co_u32_e32 v6, vcc, v0, v6, vcc
	v_lshlrev_b64 v[0:1], 2, v[1:2]
	ds_read2_b32 v[7:8], v9 offset0:8 offset1:12
	v_add_co_u32_e32 v2, vcc, v5, v0
	v_addc_co_u32_e32 v10, vcc, v6, v1, vcc
	ds_read2_b32 v[5:6], v9 offset1:4
	v_lshlrev_b64 v[0:1], 2, v[3:4]
	v_add_co_u32_e32 v0, vcc, v2, v0
	v_addc_co_u32_e32 v1, vcc, v10, v1, vcc
	s_waitcnt lgkmcnt(0)
	global_store_dword v[0:1], v5, off
	v_add_u32_e32 v0, 4, v3
	v_mov_b32_e32 v1, v4
	v_lshlrev_b64 v[0:1], 2, v[0:1]
	v_add_co_u32_e32 v0, vcc, v2, v0
	v_addc_co_u32_e32 v1, vcc, v10, v1, vcc
	global_store_dword v[0:1], v6, off
	v_add_u32_e32 v0, 8, v3
	v_mov_b32_e32 v1, v4
	v_lshlrev_b64 v[0:1], 2, v[0:1]
	ds_read2_b32 v[5:6], v9 offset0:16 offset1:20
	v_add_co_u32_e32 v0, vcc, v2, v0
	v_addc_co_u32_e32 v1, vcc, v10, v1, vcc
	global_store_dword v[0:1], v7, off
	v_add_u32_e32 v0, 12, v3
	v_mov_b32_e32 v1, v4
	v_lshlrev_b64 v[0:1], 2, v[0:1]
	v_add_co_u32_e32 v0, vcc, v2, v0
	v_addc_co_u32_e32 v1, vcc, v10, v1, vcc
	global_store_dword v[0:1], v8, off
	v_add_u32_e32 v0, 16, v3
	v_mov_b32_e32 v1, v4
	v_lshlrev_b64 v[0:1], 2, v[0:1]
	v_add_co_u32_e32 v0, vcc, v2, v0
	v_addc_co_u32_e32 v1, vcc, v10, v1, vcc
	s_waitcnt lgkmcnt(0)
	global_store_dword v[0:1], v5, off
	v_add_u32_e32 v0, 20, v3
	v_mov_b32_e32 v1, v4
	v_lshlrev_b64 v[0:1], 2, v[0:1]
	v_add_co_u32_e32 v0, vcc, v2, v0
	v_addc_co_u32_e32 v1, vcc, v10, v1, vcc
	global_store_dword v[0:1], v6, off
	v_add_u32_e32 v0, 24, v3
	v_mov_b32_e32 v1, v4
	ds_read2_b32 v[5:6], v9 offset0:24 offset1:28
	v_lshlrev_b64 v[0:1], 2, v[0:1]
	v_add_co_u32_e32 v0, vcc, v2, v0
	v_addc_co_u32_e32 v1, vcc, v10, v1, vcc
	s_waitcnt lgkmcnt(0)
	global_store_dword v[0:1], v5, off
	v_add_u32_e32 v0, 28, v3
	v_mov_b32_e32 v1, v4
	v_lshlrev_b64 v[0:1], 2, v[0:1]
	v_add_co_u32_e32 v0, vcc, v2, v0
	v_addc_co_u32_e32 v1, vcc, v10, v1, vcc
	global_store_dword v[0:1], v6, off
	v_add_u32_e32 v0, 32, v3
	v_mov_b32_e32 v1, v4
	ds_read2_b32 v[5:6], v9 offset0:32 offset1:36
	v_lshlrev_b64 v[0:1], 2, v[0:1]
	v_add_co_u32_e32 v0, vcc, v2, v0
	v_addc_co_u32_e32 v1, vcc, v10, v1, vcc
	s_waitcnt lgkmcnt(0)
	global_store_dword v[0:1], v5, off
	v_add_u32_e32 v0, 36, v3
	v_mov_b32_e32 v1, v4
	v_lshlrev_b64 v[0:1], 2, v[0:1]
	ds_read2_b32 v[7:8], v9 offset0:40 offset1:44
	ds_read_b32 v5, v9 offset:192
	v_add_co_u32_e32 v0, vcc, v2, v0
	v_addc_co_u32_e32 v1, vcc, v10, v1, vcc
	global_store_dword v[0:1], v6, off
	v_add_u32_e32 v0, 40, v3
	v_mov_b32_e32 v1, v4
	v_lshlrev_b64 v[0:1], 2, v[0:1]
	v_add_co_u32_e32 v0, vcc, v2, v0
	v_addc_co_u32_e32 v1, vcc, v10, v1, vcc
	s_waitcnt lgkmcnt(1)
	global_store_dword v[0:1], v7, off
	v_add_u32_e32 v0, 44, v3
	v_mov_b32_e32 v1, v4
	v_lshlrev_b64 v[0:1], 2, v[0:1]
	v_add_u32_e32 v3, 48, v3
	v_add_co_u32_e32 v0, vcc, v2, v0
	v_addc_co_u32_e32 v1, vcc, v10, v1, vcc
	global_store_dword v[0:1], v8, off
	v_lshlrev_b64 v[0:1], 2, v[3:4]
	v_add_co_u32_e32 v0, vcc, v2, v0
	v_addc_co_u32_e32 v1, vcc, v10, v1, vcc
	s_waitcnt lgkmcnt(0)
	global_store_dword v[0:1], v5, off
.LBB0_27:
	s_endpgm
	.section	.rodata,"a",@progbits
	.p2align	6, 0x0
	.amdhsa_kernel fft_rtc_back_len52_factors_13_4_wgs_64_tpt_4_halfLds_half_op_CI_CI_unitstride_sbrr_C2R_dirReg
		.amdhsa_group_segment_fixed_size 0
		.amdhsa_private_segment_fixed_size 0
		.amdhsa_kernarg_size 104
		.amdhsa_user_sgpr_count 6
		.amdhsa_user_sgpr_private_segment_buffer 1
		.amdhsa_user_sgpr_dispatch_ptr 0
		.amdhsa_user_sgpr_queue_ptr 0
		.amdhsa_user_sgpr_kernarg_segment_ptr 1
		.amdhsa_user_sgpr_dispatch_id 0
		.amdhsa_user_sgpr_flat_scratch_init 0
		.amdhsa_user_sgpr_private_segment_size 0
		.amdhsa_uses_dynamic_stack 0
		.amdhsa_system_sgpr_private_segment_wavefront_offset 0
		.amdhsa_system_sgpr_workgroup_id_x 1
		.amdhsa_system_sgpr_workgroup_id_y 0
		.amdhsa_system_sgpr_workgroup_id_z 0
		.amdhsa_system_sgpr_workgroup_info 0
		.amdhsa_system_vgpr_workitem_id 0
		.amdhsa_next_free_vgpr 58
		.amdhsa_next_free_sgpr 28
		.amdhsa_reserve_vcc 1
		.amdhsa_reserve_flat_scratch 0
		.amdhsa_float_round_mode_32 0
		.amdhsa_float_round_mode_16_64 0
		.amdhsa_float_denorm_mode_32 3
		.amdhsa_float_denorm_mode_16_64 3
		.amdhsa_dx10_clamp 1
		.amdhsa_ieee_mode 1
		.amdhsa_fp16_overflow 0
		.amdhsa_exception_fp_ieee_invalid_op 0
		.amdhsa_exception_fp_denorm_src 0
		.amdhsa_exception_fp_ieee_div_zero 0
		.amdhsa_exception_fp_ieee_overflow 0
		.amdhsa_exception_fp_ieee_underflow 0
		.amdhsa_exception_fp_ieee_inexact 0
		.amdhsa_exception_int_div_zero 0
	.end_amdhsa_kernel
	.text
.Lfunc_end0:
	.size	fft_rtc_back_len52_factors_13_4_wgs_64_tpt_4_halfLds_half_op_CI_CI_unitstride_sbrr_C2R_dirReg, .Lfunc_end0-fft_rtc_back_len52_factors_13_4_wgs_64_tpt_4_halfLds_half_op_CI_CI_unitstride_sbrr_C2R_dirReg
                                        ; -- End function
	.section	.AMDGPU.csdata,"",@progbits
; Kernel info:
; codeLenInByte = 7524
; NumSgprs: 32
; NumVgprs: 58
; ScratchSize: 0
; MemoryBound: 0
; FloatMode: 240
; IeeeMode: 1
; LDSByteSize: 0 bytes/workgroup (compile time only)
; SGPRBlocks: 3
; VGPRBlocks: 14
; NumSGPRsForWavesPerEU: 32
; NumVGPRsForWavesPerEU: 58
; Occupancy: 4
; WaveLimiterHint : 1
; COMPUTE_PGM_RSRC2:SCRATCH_EN: 0
; COMPUTE_PGM_RSRC2:USER_SGPR: 6
; COMPUTE_PGM_RSRC2:TRAP_HANDLER: 0
; COMPUTE_PGM_RSRC2:TGID_X_EN: 1
; COMPUTE_PGM_RSRC2:TGID_Y_EN: 0
; COMPUTE_PGM_RSRC2:TGID_Z_EN: 0
; COMPUTE_PGM_RSRC2:TIDIG_COMP_CNT: 0
	.type	__hip_cuid_bbccaad6ed28b42,@object ; @__hip_cuid_bbccaad6ed28b42
	.section	.bss,"aw",@nobits
	.globl	__hip_cuid_bbccaad6ed28b42
__hip_cuid_bbccaad6ed28b42:
	.byte	0                               ; 0x0
	.size	__hip_cuid_bbccaad6ed28b42, 1

	.ident	"AMD clang version 19.0.0git (https://github.com/RadeonOpenCompute/llvm-project roc-6.4.0 25133 c7fe45cf4b819c5991fe208aaa96edf142730f1d)"
	.section	".note.GNU-stack","",@progbits
	.addrsig
	.addrsig_sym __hip_cuid_bbccaad6ed28b42
	.amdgpu_metadata
---
amdhsa.kernels:
  - .args:
      - .actual_access:  read_only
        .address_space:  global
        .offset:         0
        .size:           8
        .value_kind:     global_buffer
      - .offset:         8
        .size:           8
        .value_kind:     by_value
      - .actual_access:  read_only
        .address_space:  global
        .offset:         16
        .size:           8
        .value_kind:     global_buffer
      - .actual_access:  read_only
        .address_space:  global
        .offset:         24
        .size:           8
        .value_kind:     global_buffer
      - .actual_access:  read_only
        .address_space:  global
        .offset:         32
        .size:           8
        .value_kind:     global_buffer
      - .offset:         40
        .size:           8
        .value_kind:     by_value
      - .actual_access:  read_only
        .address_space:  global
        .offset:         48
        .size:           8
        .value_kind:     global_buffer
      - .actual_access:  read_only
        .address_space:  global
        .offset:         56
        .size:           8
        .value_kind:     global_buffer
      - .offset:         64
        .size:           4
        .value_kind:     by_value
      - .actual_access:  read_only
        .address_space:  global
        .offset:         72
        .size:           8
        .value_kind:     global_buffer
      - .actual_access:  read_only
        .address_space:  global
        .offset:         80
        .size:           8
        .value_kind:     global_buffer
      - .actual_access:  read_only
        .address_space:  global
        .offset:         88
        .size:           8
        .value_kind:     global_buffer
      - .actual_access:  write_only
        .address_space:  global
        .offset:         96
        .size:           8
        .value_kind:     global_buffer
    .group_segment_fixed_size: 0
    .kernarg_segment_align: 8
    .kernarg_segment_size: 104
    .language:       OpenCL C
    .language_version:
      - 2
      - 0
    .max_flat_workgroup_size: 64
    .name:           fft_rtc_back_len52_factors_13_4_wgs_64_tpt_4_halfLds_half_op_CI_CI_unitstride_sbrr_C2R_dirReg
    .private_segment_fixed_size: 0
    .sgpr_count:     32
    .sgpr_spill_count: 0
    .symbol:         fft_rtc_back_len52_factors_13_4_wgs_64_tpt_4_halfLds_half_op_CI_CI_unitstride_sbrr_C2R_dirReg.kd
    .uniform_work_group_size: 1
    .uses_dynamic_stack: false
    .vgpr_count:     58
    .vgpr_spill_count: 0
    .wavefront_size: 64
amdhsa.target:   amdgcn-amd-amdhsa--gfx906
amdhsa.version:
  - 1
  - 2
...

	.end_amdgpu_metadata
